;; amdgpu-corpus repo=ROCm/rocFFT kind=compiled arch=gfx1030 opt=O3
	.text
	.amdgcn_target "amdgcn-amd-amdhsa--gfx1030"
	.amdhsa_code_object_version 6
	.protected	fft_rtc_fwd_len1430_factors_13_11_10_wgs_143_tpt_143_dp_ip_CI_sbrr_dirReg ; -- Begin function fft_rtc_fwd_len1430_factors_13_11_10_wgs_143_tpt_143_dp_ip_CI_sbrr_dirReg
	.globl	fft_rtc_fwd_len1430_factors_13_11_10_wgs_143_tpt_143_dp_ip_CI_sbrr_dirReg
	.p2align	8
	.type	fft_rtc_fwd_len1430_factors_13_11_10_wgs_143_tpt_143_dp_ip_CI_sbrr_dirReg,@function
fft_rtc_fwd_len1430_factors_13_11_10_wgs_143_tpt_143_dp_ip_CI_sbrr_dirReg: ; @fft_rtc_fwd_len1430_factors_13_11_10_wgs_143_tpt_143_dp_ip_CI_sbrr_dirReg
; %bb.0:
	s_clause 0x2
	s_load_dwordx2 s[14:15], s[4:5], 0x18
	s_load_dwordx4 s[8:11], s[4:5], 0x0
	s_load_dwordx2 s[12:13], s[4:5], 0x50
	v_mul_u32_u24_e32 v1, 0x1cb, v0
	v_mov_b32_e32 v3, 0
	v_add_nc_u32_sdwa v5, s6, v1 dst_sel:DWORD dst_unused:UNUSED_PAD src0_sel:DWORD src1_sel:WORD_1
	v_mov_b32_e32 v1, 0
	v_mov_b32_e32 v6, v3
	v_mov_b32_e32 v2, 0
	s_waitcnt lgkmcnt(0)
	s_load_dwordx2 s[2:3], s[14:15], 0x0
	v_cmp_lt_u64_e64 s0, s[10:11], 2
	s_and_b32 vcc_lo, exec_lo, s0
	s_cbranch_vccnz .LBB0_8
; %bb.1:
	s_load_dwordx2 s[0:1], s[4:5], 0x10
	v_mov_b32_e32 v1, 0
	s_add_u32 s6, s14, 8
	v_mov_b32_e32 v2, 0
	s_addc_u32 s7, s15, 0
	s_mov_b64 s[18:19], 1
	s_waitcnt lgkmcnt(0)
	s_add_u32 s16, s0, 8
	s_addc_u32 s17, s1, 0
.LBB0_2:                                ; =>This Inner Loop Header: Depth=1
	s_load_dwordx2 s[20:21], s[16:17], 0x0
                                        ; implicit-def: $vgpr7_vgpr8
	s_mov_b32 s0, exec_lo
	s_waitcnt lgkmcnt(0)
	v_or_b32_e32 v4, s21, v6
	v_cmpx_ne_u64_e32 0, v[3:4]
	s_xor_b32 s1, exec_lo, s0
	s_cbranch_execz .LBB0_4
; %bb.3:                                ;   in Loop: Header=BB0_2 Depth=1
	v_cvt_f32_u32_e32 v4, s20
	v_cvt_f32_u32_e32 v7, s21
	s_sub_u32 s0, 0, s20
	s_subb_u32 s22, 0, s21
	v_fmac_f32_e32 v4, 0x4f800000, v7
	v_rcp_f32_e32 v4, v4
	v_mul_f32_e32 v4, 0x5f7ffffc, v4
	v_mul_f32_e32 v7, 0x2f800000, v4
	v_trunc_f32_e32 v7, v7
	v_fmac_f32_e32 v4, 0xcf800000, v7
	v_cvt_u32_f32_e32 v7, v7
	v_cvt_u32_f32_e32 v4, v4
	v_mul_lo_u32 v8, s0, v7
	v_mul_hi_u32 v9, s0, v4
	v_mul_lo_u32 v10, s22, v4
	v_add_nc_u32_e32 v8, v9, v8
	v_mul_lo_u32 v9, s0, v4
	v_add_nc_u32_e32 v8, v8, v10
	v_mul_hi_u32 v10, v4, v9
	v_mul_lo_u32 v11, v4, v8
	v_mul_hi_u32 v12, v4, v8
	v_mul_hi_u32 v13, v7, v9
	v_mul_lo_u32 v9, v7, v9
	v_mul_hi_u32 v14, v7, v8
	v_mul_lo_u32 v8, v7, v8
	v_add_co_u32 v10, vcc_lo, v10, v11
	v_add_co_ci_u32_e32 v11, vcc_lo, 0, v12, vcc_lo
	v_add_co_u32 v9, vcc_lo, v10, v9
	v_add_co_ci_u32_e32 v9, vcc_lo, v11, v13, vcc_lo
	v_add_co_ci_u32_e32 v10, vcc_lo, 0, v14, vcc_lo
	v_add_co_u32 v8, vcc_lo, v9, v8
	v_add_co_ci_u32_e32 v9, vcc_lo, 0, v10, vcc_lo
	v_add_co_u32 v4, vcc_lo, v4, v8
	v_add_co_ci_u32_e32 v7, vcc_lo, v7, v9, vcc_lo
	v_mul_hi_u32 v8, s0, v4
	v_mul_lo_u32 v10, s22, v4
	v_mul_lo_u32 v9, s0, v7
	v_add_nc_u32_e32 v8, v8, v9
	v_mul_lo_u32 v9, s0, v4
	v_add_nc_u32_e32 v8, v8, v10
	v_mul_hi_u32 v10, v4, v9
	v_mul_lo_u32 v11, v4, v8
	v_mul_hi_u32 v12, v4, v8
	v_mul_hi_u32 v13, v7, v9
	v_mul_lo_u32 v9, v7, v9
	v_mul_hi_u32 v14, v7, v8
	v_mul_lo_u32 v8, v7, v8
	v_add_co_u32 v10, vcc_lo, v10, v11
	v_add_co_ci_u32_e32 v11, vcc_lo, 0, v12, vcc_lo
	v_add_co_u32 v9, vcc_lo, v10, v9
	v_add_co_ci_u32_e32 v9, vcc_lo, v11, v13, vcc_lo
	v_add_co_ci_u32_e32 v10, vcc_lo, 0, v14, vcc_lo
	v_add_co_u32 v8, vcc_lo, v9, v8
	v_add_co_ci_u32_e32 v9, vcc_lo, 0, v10, vcc_lo
	v_add_co_u32 v4, vcc_lo, v4, v8
	v_add_co_ci_u32_e32 v11, vcc_lo, v7, v9, vcc_lo
	v_mul_hi_u32 v13, v5, v4
	v_mad_u64_u32 v[9:10], null, v6, v4, 0
	v_mad_u64_u32 v[7:8], null, v5, v11, 0
	;; [unrolled: 1-line block ×3, first 2 shown]
	v_add_co_u32 v4, vcc_lo, v13, v7
	v_add_co_ci_u32_e32 v7, vcc_lo, 0, v8, vcc_lo
	v_add_co_u32 v4, vcc_lo, v4, v9
	v_add_co_ci_u32_e32 v4, vcc_lo, v7, v10, vcc_lo
	v_add_co_ci_u32_e32 v7, vcc_lo, 0, v12, vcc_lo
	v_add_co_u32 v4, vcc_lo, v4, v11
	v_add_co_ci_u32_e32 v9, vcc_lo, 0, v7, vcc_lo
	v_mul_lo_u32 v10, s21, v4
	v_mad_u64_u32 v[7:8], null, s20, v4, 0
	v_mul_lo_u32 v11, s20, v9
	v_sub_co_u32 v7, vcc_lo, v5, v7
	v_add3_u32 v8, v8, v11, v10
	v_sub_nc_u32_e32 v10, v6, v8
	v_subrev_co_ci_u32_e64 v10, s0, s21, v10, vcc_lo
	v_add_co_u32 v11, s0, v4, 2
	v_add_co_ci_u32_e64 v12, s0, 0, v9, s0
	v_sub_co_u32 v13, s0, v7, s20
	v_sub_co_ci_u32_e32 v8, vcc_lo, v6, v8, vcc_lo
	v_subrev_co_ci_u32_e64 v10, s0, 0, v10, s0
	v_cmp_le_u32_e32 vcc_lo, s20, v13
	v_cmp_eq_u32_e64 s0, s21, v8
	v_cndmask_b32_e64 v13, 0, -1, vcc_lo
	v_cmp_le_u32_e32 vcc_lo, s21, v10
	v_cndmask_b32_e64 v14, 0, -1, vcc_lo
	v_cmp_le_u32_e32 vcc_lo, s20, v7
	;; [unrolled: 2-line block ×3, first 2 shown]
	v_cndmask_b32_e64 v15, 0, -1, vcc_lo
	v_cmp_eq_u32_e32 vcc_lo, s21, v10
	v_cndmask_b32_e64 v7, v15, v7, s0
	v_cndmask_b32_e32 v10, v14, v13, vcc_lo
	v_add_co_u32 v13, vcc_lo, v4, 1
	v_add_co_ci_u32_e32 v14, vcc_lo, 0, v9, vcc_lo
	v_cmp_ne_u32_e32 vcc_lo, 0, v10
	v_cndmask_b32_e32 v8, v14, v12, vcc_lo
	v_cndmask_b32_e32 v10, v13, v11, vcc_lo
	v_cmp_ne_u32_e32 vcc_lo, 0, v7
	v_cndmask_b32_e32 v8, v9, v8, vcc_lo
	v_cndmask_b32_e32 v7, v4, v10, vcc_lo
.LBB0_4:                                ;   in Loop: Header=BB0_2 Depth=1
	s_andn2_saveexec_b32 s0, s1
	s_cbranch_execz .LBB0_6
; %bb.5:                                ;   in Loop: Header=BB0_2 Depth=1
	v_cvt_f32_u32_e32 v4, s20
	s_sub_i32 s1, 0, s20
	v_rcp_iflag_f32_e32 v4, v4
	v_mul_f32_e32 v4, 0x4f7ffffe, v4
	v_cvt_u32_f32_e32 v4, v4
	v_mul_lo_u32 v7, s1, v4
	v_mul_hi_u32 v7, v4, v7
	v_add_nc_u32_e32 v4, v4, v7
	v_mul_hi_u32 v4, v5, v4
	v_mul_lo_u32 v7, v4, s20
	v_add_nc_u32_e32 v8, 1, v4
	v_sub_nc_u32_e32 v7, v5, v7
	v_subrev_nc_u32_e32 v9, s20, v7
	v_cmp_le_u32_e32 vcc_lo, s20, v7
	v_cndmask_b32_e32 v7, v7, v9, vcc_lo
	v_cndmask_b32_e32 v4, v4, v8, vcc_lo
	v_cmp_le_u32_e32 vcc_lo, s20, v7
	v_add_nc_u32_e32 v8, 1, v4
	v_cndmask_b32_e32 v7, v4, v8, vcc_lo
	v_mov_b32_e32 v8, v3
.LBB0_6:                                ;   in Loop: Header=BB0_2 Depth=1
	s_or_b32 exec_lo, exec_lo, s0
	s_load_dwordx2 s[0:1], s[6:7], 0x0
	v_mul_lo_u32 v4, v8, s20
	v_mul_lo_u32 v11, v7, s21
	v_mad_u64_u32 v[9:10], null, v7, s20, 0
	s_add_u32 s18, s18, 1
	s_addc_u32 s19, s19, 0
	s_add_u32 s6, s6, 8
	s_addc_u32 s7, s7, 0
	;; [unrolled: 2-line block ×3, first 2 shown]
	v_add3_u32 v4, v10, v11, v4
	v_sub_co_u32 v5, vcc_lo, v5, v9
	v_sub_co_ci_u32_e32 v4, vcc_lo, v6, v4, vcc_lo
	s_waitcnt lgkmcnt(0)
	v_mul_lo_u32 v6, s1, v5
	v_mul_lo_u32 v4, s0, v4
	v_mad_u64_u32 v[1:2], null, s0, v5, v[1:2]
	v_cmp_ge_u64_e64 s0, s[18:19], s[10:11]
	s_and_b32 vcc_lo, exec_lo, s0
	v_add3_u32 v2, v6, v2, v4
	s_cbranch_vccnz .LBB0_9
; %bb.7:                                ;   in Loop: Header=BB0_2 Depth=1
	v_mov_b32_e32 v5, v7
	v_mov_b32_e32 v6, v8
	s_branch .LBB0_2
.LBB0_8:
	v_mov_b32_e32 v8, v6
	v_mov_b32_e32 v7, v5
.LBB0_9:
	s_lshl_b64 s[0:1], s[10:11], 3
	v_mul_hi_u32 v3, 0x1ca4b31, v0
	s_add_u32 s0, s14, s0
	s_addc_u32 s1, s15, s1
	v_mov_b32_e32 v140, 0
	s_load_dwordx2 s[0:1], s[0:1], 0x0
	s_load_dwordx2 s[4:5], s[4:5], 0x20
                                        ; implicit-def: $vgpr10_vgpr11
                                        ; implicit-def: $vgpr14_vgpr15
                                        ; implicit-def: $vgpr18_vgpr19
                                        ; implicit-def: $vgpr22_vgpr23
                                        ; implicit-def: $vgpr30_vgpr31
                                        ; implicit-def: $vgpr42_vgpr43
                                        ; implicit-def: $vgpr26_vgpr27
                                        ; implicit-def: $vgpr34_vgpr35
                                        ; implicit-def: $vgpr46_vgpr47
                                        ; implicit-def: $vgpr50_vgpr51
                                        ; implicit-def: $vgpr38_vgpr39
	s_waitcnt lgkmcnt(0)
	v_mul_lo_u32 v4, s0, v8
	v_mul_lo_u32 v5, s1, v7
	v_mad_u64_u32 v[52:53], null, s0, v7, v[1:2]
	v_mul_u32_u24_e32 v1, 0x8f, v3
	v_cmp_gt_u64_e32 vcc_lo, s[4:5], v[7:8]
                                        ; implicit-def: $vgpr6_vgpr7
                                        ; implicit-def: $vgpr2_vgpr3
	v_sub_nc_u32_e32 v141, v0, v1
	v_add3_u32 v53, v5, v53, v4
	s_and_saveexec_b32 s1, vcc_lo
	s_cbranch_execz .LBB0_13
; %bb.10:
	s_mov_b32 s4, exec_lo
                                        ; implicit-def: $vgpr0_vgpr1
                                        ; implicit-def: $vgpr36_vgpr37
                                        ; implicit-def: $vgpr48_vgpr49
                                        ; implicit-def: $vgpr44_vgpr45
                                        ; implicit-def: $vgpr32_vgpr33
                                        ; implicit-def: $vgpr24_vgpr25
                                        ; implicit-def: $vgpr40_vgpr41
                                        ; implicit-def: $vgpr28_vgpr29
                                        ; implicit-def: $vgpr20_vgpr21
                                        ; implicit-def: $vgpr16_vgpr17
                                        ; implicit-def: $vgpr12_vgpr13
                                        ; implicit-def: $vgpr8_vgpr9
                                        ; implicit-def: $vgpr4_vgpr5
	v_cmpx_gt_u32_e32 0x6e, v141
	s_cbranch_execz .LBB0_12
; %bb.11:
	v_add_nc_u32_e32 v9, 0x6e, v141
	v_mad_u64_u32 v[0:1], null, s2, v141, 0
	v_add_nc_u32_e32 v12, 0xdc, v141
	v_add_nc_u32_e32 v13, 0x14a, v141
	v_mad_u64_u32 v[2:3], null, s2, v9, 0
	v_lshlrev_b64 v[4:5], 4, v[52:53]
	v_add_nc_u32_e32 v14, 0x1b8, v141
	v_add_nc_u32_e32 v17, 0x226, v141
	;; [unrolled: 1-line block ×5, first 2 shown]
	v_mad_u64_u32 v[6:7], null, s3, v141, v[1:2]
	v_mov_b32_e32 v1, v3
	v_mad_u64_u32 v[7:8], null, s2, v12, 0
	v_add_co_u32 v21, s0, s12, v4
	v_mad_u64_u32 v[9:10], null, s3, v9, v[1:2]
	v_mad_u64_u32 v[10:11], null, s2, v13, 0
	v_mov_b32_e32 v1, v6
	v_add_co_ci_u32_e64 v22, s0, s13, v5, s0
	v_mov_b32_e32 v4, v8
	v_mov_b32_e32 v3, v9
	v_lshlrev_b64 v[0:1], 4, v[0:1]
	v_mov_b32_e32 v5, v11
	v_add_nc_u32_e32 v54, 0x528, v141
	v_lshlrev_b64 v[2:3], 4, v[2:3]
	v_mad_u64_u32 v[8:9], null, s3, v12, v[4:5]
	v_add_co_u32 v0, s0, v21, v0
	v_mad_u64_u32 v[4:5], null, s3, v13, v[5:6]
	v_mad_u64_u32 v[5:6], null, s2, v14, 0
	v_add_co_ci_u32_e64 v1, s0, v22, v1, s0
	v_add_co_u32 v11, s0, v21, v2
	v_add_co_ci_u32_e64 v12, s0, v22, v3, s0
	s_clause 0x1
	global_load_dwordx4 v[0:3], v[0:1], off
	global_load_dwordx4 v[36:39], v[11:12], off
	v_mov_b32_e32 v11, v4
	v_mov_b32_e32 v4, v6
	v_mad_u64_u32 v[12:13], null, s2, v17, 0
	v_lshlrev_b64 v[7:8], 4, v[7:8]
	v_lshlrev_b64 v[9:10], 4, v[10:11]
	v_mad_u64_u32 v[14:15], null, s3, v14, v[4:5]
	v_add_nc_u32_e32 v11, 0x294, v141
	v_mov_b32_e32 v4, v13
	v_add_co_u32 v7, s0, v21, v7
	v_mad_u64_u32 v[15:16], null, s2, v11, 0
	v_mov_b32_e32 v6, v14
	v_add_co_ci_u32_e64 v8, s0, v22, v8, s0
	v_mad_u64_u32 v[13:14], null, s3, v17, v[4:5]
	v_mad_u64_u32 v[17:18], null, s2, v19, 0
	v_add_co_u32 v9, s0, v21, v9
	v_lshlrev_b64 v[5:6], 4, v[5:6]
	v_mov_b32_e32 v4, v16
	v_add_co_ci_u32_e64 v10, s0, v22, v10, s0
	s_clause 0x1
	global_load_dwordx4 v[48:51], v[7:8], off
	global_load_dwordx4 v[44:47], v[9:10], off
	v_mad_u64_u32 v[7:8], null, s3, v11, v[4:5]
	v_mov_b32_e32 v4, v18
	v_add_co_u32 v5, s0, v21, v5
	v_lshlrev_b64 v[8:9], 4, v[12:13]
	v_add_co_ci_u32_e64 v6, s0, v22, v6, s0
	v_mad_u64_u32 v[10:11], null, s3, v19, v[4:5]
	v_add_nc_u32_e32 v19, 0x370, v141
	v_mov_b32_e32 v16, v7
	v_add_co_u32 v7, s0, v21, v8
	v_add_co_ci_u32_e64 v8, s0, v22, v9, s0
	v_mad_u64_u32 v[13:14], null, s2, v19, 0
	v_lshlrev_b64 v[11:12], 4, v[15:16]
	v_mov_b32_e32 v18, v10
	s_clause 0x1
	global_load_dwordx4 v[32:35], v[5:6], off
	global_load_dwordx4 v[24:27], v[7:8], off
	v_mad_u64_u32 v[15:16], null, s2, v20, 0
	v_add_co_u32 v4, s0, v21, v11
	v_lshlrev_b64 v[7:8], 4, v[17:18]
	v_mov_b32_e32 v6, v14
	v_add_co_ci_u32_e64 v5, s0, v22, v12, s0
	v_add_nc_u32_e32 v12, 0x3de, v141
	v_mad_u64_u32 v[17:18], null, s2, v23, 0
	v_mad_u64_u32 v[9:10], null, s3, v19, v[6:7]
	v_mad_u64_u32 v[10:11], null, s2, v12, 0
	v_add_co_u32 v6, s0, v21, v7
	v_add_co_ci_u32_e64 v7, s0, v22, v8, s0
	v_mov_b32_e32 v14, v9
	v_mov_b32_e32 v9, v16
	;; [unrolled: 1-line block ×3, first 2 shown]
	s_clause 0x1
	global_load_dwordx4 v[40:43], v[4:5], off
	global_load_dwordx4 v[28:31], v[6:7], off
	v_mov_b32_e32 v4, v18
	v_lshlrev_b64 v[5:6], 4, v[13:14]
	v_mad_u64_u32 v[11:12], null, s3, v12, v[8:9]
	v_mad_u64_u32 v[8:9], null, s3, v20, v[9:10]
	;; [unrolled: 1-line block ×3, first 2 shown]
	v_mov_b32_e32 v16, v8
	v_mad_u64_u32 v[7:8], null, s3, v23, v[4:5]
	v_mov_b32_e32 v4, v20
	v_add_co_u32 v5, s0, v21, v5
	v_lshlrev_b64 v[8:9], 4, v[10:11]
	v_add_co_ci_u32_e64 v6, s0, v22, v6, s0
	v_mad_u64_u32 v[10:11], null, s3, v54, v[4:5]
	v_lshlrev_b64 v[11:12], 4, v[15:16]
	v_mov_b32_e32 v18, v7
	v_add_co_u32 v7, s0, v21, v8
	v_add_co_ci_u32_e64 v8, s0, v22, v9, s0
	v_mov_b32_e32 v20, v10
	v_lshlrev_b64 v[13:14], 4, v[17:18]
	v_add_co_u32 v9, s0, v21, v11
	v_add_co_ci_u32_e64 v10, s0, v22, v12, s0
	v_lshlrev_b64 v[11:12], 4, v[19:20]
	v_add_co_u32 v54, s0, v21, v13
	v_add_co_ci_u32_e64 v55, s0, v22, v14, s0
	v_add_co_u32 v56, s0, v21, v11
	v_add_co_ci_u32_e64 v57, s0, v22, v12, s0
	s_clause 0x4
	global_load_dwordx4 v[20:23], v[5:6], off
	global_load_dwordx4 v[16:19], v[7:8], off
	;; [unrolled: 1-line block ×5, first 2 shown]
.LBB0_12:
	s_or_b32 exec_lo, exec_lo, s4
	v_mov_b32_e32 v140, v141
.LBB0_13:
	s_or_b32 exec_lo, exec_lo, s1
	s_waitcnt vmcnt(11)
	v_add_f64 v[76:77], v[36:37], v[0:1]
	v_add_f64 v[78:79], v[38:39], v[2:3]
	s_waitcnt vmcnt(2)
	v_add_f64 v[66:67], v[12:13], v[44:45]
	v_add_f64 v[136:137], v[44:45], -v[12:13]
	s_waitcnt vmcnt(1)
	v_add_f64 v[72:73], v[10:11], v[50:51]
	v_add_f64 v[138:139], v[50:51], -v[10:11]
	s_waitcnt vmcnt(0)
	v_add_f64 v[144:145], v[38:39], -v[6:7]
	s_mov_b32 s28, 0x4267c47c
	s_mov_b32 s22, 0x42a4c3d2
	;; [unrolled: 1-line block ×4, first 2 shown]
	v_add_f64 v[62:63], v[16:17], v[32:33]
	v_add_f64 v[64:65], v[18:19], v[34:35]
	v_add_f64 v[128:129], v[32:33], -v[16:17]
	v_add_f64 v[122:123], v[34:35], -v[18:19]
	v_add_f64 v[70:71], v[8:9], v[48:49]
	v_add_f64 v[142:143], v[48:49], -v[8:9]
	s_mov_b32 s4, 0xe00740e9
	s_mov_b32 s18, 0x1ea71119
	;; [unrolled: 1-line block ×5, first 2 shown]
	v_add_f64 v[76:77], v[48:49], v[76:77]
	v_add_f64 v[78:79], v[50:51], v[78:79]
	;; [unrolled: 1-line block ×4, first 2 shown]
	v_add_f64 v[36:37], v[36:37], -v[4:5]
	s_mov_b32 s5, 0x3fec55a7
	v_mul_f64 v[114:115], v[144:145], s[28:29]
	v_mul_f64 v[132:133], v[144:145], s[22:23]
	s_mov_b32 s19, 0x3fe22d96
	s_mov_b32 s1, 0x3fefc445
	;; [unrolled: 1-line block ×8, first 2 shown]
	v_add_f64 v[58:59], v[20:21], v[24:25]
	v_add_f64 v[60:61], v[22:23], v[26:27]
	v_add_f64 v[118:119], v[24:25], -v[20:21]
	v_add_f64 v[94:95], v[26:27], -v[22:23]
	v_add_f64 v[130:131], v[46:47], -v[14:15]
	v_mul_f64 v[108:109], v[138:139], s[22:23]
	v_add_f64 v[38:39], v[44:45], v[76:77]
	v_add_f64 v[44:45], v[46:47], v[78:79]
	v_mul_f64 v[120:121], v[138:139], s[24:25]
	s_mov_b32 s16, 0xb2365da1
	v_mul_f64 v[126:127], v[36:37], s[28:29]
	v_mul_f64 v[134:135], v[36:37], s[22:23]
	v_fma_f64 v[158:159], v[48:49], s[4:5], -v[114:115]
	v_fma_f64 v[162:163], v[48:49], s[18:19], -v[132:133]
	s_mov_b32 s30, 0x4bc48dbf
	s_mov_b32 s10, 0x93053d00
	;; [unrolled: 1-line block ×7, first 2 shown]
	v_mul_f64 v[110:111], v[142:143], s[22:23]
	v_mul_f64 v[124:125], v[142:143], s[24:25]
	s_mov_b32 s38, 0x24c2f84
	s_mov_b32 s39, 0x3fe5384d
	v_add_f64 v[68:69], v[14:15], v[46:47]
	v_mul_f64 v[100:101], v[130:131], s[20:21]
	v_mul_f64 v[112:113], v[130:131], s[36:37]
	v_add_f64 v[32:33], v[32:33], v[38:39]
	v_add_f64 v[34:35], v[34:35], v[44:45]
	v_mul_f64 v[38:39], v[70:71], s[10:11]
	v_mul_f64 v[44:45], v[142:143], s[36:37]
	v_fma_f64 v[160:161], v[50:51], s[4:5], v[126:127]
	v_fma_f64 v[164:165], v[50:51], s[18:19], v[134:135]
	v_fma_f64 v[182:183], v[70:71], s[18:19], -v[108:109]
	v_fma_f64 v[186:187], v[70:71], s[16:17], -v[120:121]
	v_add_f64 v[158:159], v[0:1], v[158:159]
	v_add_f64 v[162:163], v[0:1], v[162:163]
	v_mul_f64 v[102:103], v[136:137], s[20:21]
	v_mul_f64 v[86:87], v[122:123], s[24:25]
	;; [unrolled: 1-line block ×6, first 2 shown]
	v_fma_f64 v[184:185], v[72:73], s[18:19], v[110:111]
	v_fma_f64 v[188:189], v[72:73], s[16:17], v[124:125]
	s_mov_b32 s14, 0xd0032e0c
	s_mov_b32 s35, 0xbfe5384d
	v_fma_f64 v[190:191], v[66:67], s[6:7], -v[100:101]
	v_fma_f64 v[198:199], v[66:67], s[10:11], -v[112:113]
	v_add_f64 v[24:25], v[24:25], v[32:33]
	v_add_f64 v[26:27], v[26:27], v[34:35]
	v_mul_f64 v[32:33], v[48:49], s[6:7]
	v_mul_f64 v[34:35], v[36:37], s[20:21]
	v_add_f64 v[160:161], v[2:3], v[160:161]
	v_add_f64 v[164:165], v[2:3], v[164:165]
	v_fma_f64 v[192:193], v[138:139], s[30:31], v[38:39]
	v_fma_f64 v[194:195], v[72:73], s[10:11], v[44:45]
	;; [unrolled: 1-line block ×3, first 2 shown]
	v_fma_f64 v[44:45], v[72:73], s[10:11], -v[44:45]
	v_add_f64 v[158:159], v[182:183], v[158:159]
	v_add_f64 v[162:163], v[186:187], v[162:163]
	s_mov_b32 s15, 0xbfe7f3cc
	s_mov_b32 s41, 0x3fddbe06
	;; [unrolled: 1-line block ×4, first 2 shown]
	v_add_f64 v[56:57], v[30:31], v[42:43]
	v_add_f64 v[74:75], v[42:43], -v[30:31]
	v_mul_f64 v[90:91], v[128:129], s[24:25]
	v_mul_f64 v[80:81], v[94:95], s[34:35]
	;; [unrolled: 1-line block ×4, first 2 shown]
	v_add_f64 v[24:25], v[40:41], v[24:25]
	v_add_f64 v[26:27], v[42:43], v[26:27]
	v_fma_f64 v[170:171], v[144:145], s[0:1], v[32:33]
	v_fma_f64 v[174:175], v[50:51], s[6:7], v[34:35]
	;; [unrolled: 1-line block ×3, first 2 shown]
	v_fma_f64 v[34:35], v[50:51], s[6:7], -v[34:35]
	v_mul_f64 v[148:149], v[62:63], s[4:5]
	v_mul_f64 v[150:151], v[128:129], s[40:41]
	;; [unrolled: 1-line block ×3, first 2 shown]
	v_fma_f64 v[196:197], v[68:69], s[6:7], v[102:103]
	v_fma_f64 v[200:201], v[68:69], s[10:11], v[116:117]
	v_add_f64 v[160:161], v[184:185], v[160:161]
	v_add_f64 v[164:165], v[188:189], v[164:165]
	v_fma_f64 v[182:183], v[62:63], s[14:15], -v[104:105]
	v_fma_f64 v[184:185], v[130:131], s[24:25], v[46:47]
	v_fma_f64 v[186:187], v[68:69], s[16:17], v[146:147]
	;; [unrolled: 1-line block ×3, first 2 shown]
	v_fma_f64 v[146:147], v[68:69], s[16:17], -v[146:147]
	v_add_f64 v[158:159], v[190:191], v[158:159]
	v_add_f64 v[162:163], v[198:199], v[162:163]
	;; [unrolled: 1-line block ×3, first 2 shown]
	v_mul_f64 v[82:83], v[118:119], s[34:35]
	v_add_f64 v[24:25], v[28:29], v[24:25]
	v_add_f64 v[26:27], v[30:31], v[26:27]
	;; [unrolled: 1-line block ×6, first 2 shown]
	v_mul_f64 v[98:99], v[118:119], s[0:1]
	v_mul_f64 v[152:153], v[58:59], s[18:19]
	;; [unrolled: 1-line block ×4, first 2 shown]
	v_fma_f64 v[202:203], v[144:145], s[26:27], v[42:43]
	v_fma_f64 v[188:189], v[64:65], s[14:15], v[106:107]
	v_add_f64 v[160:161], v[196:197], v[160:161]
	v_add_f64 v[164:165], v[200:201], v[164:165]
	v_fma_f64 v[190:191], v[58:59], s[6:7], -v[96:97]
	v_fma_f64 v[196:197], v[122:123], s[28:29], v[148:149]
	v_fma_f64 v[148:149], v[122:123], s[40:41], v[148:149]
	s_mov_b32 s43, 0x3fea55e2
	s_mov_b32 s42, s22
	v_mul_f64 v[168:169], v[36:37], s[24:25]
	v_mul_f64 v[156:157], v[54:55], s[14:15]
	;; [unrolled: 1-line block ×3, first 2 shown]
	v_add_f64 v[20:21], v[20:21], v[24:25]
	v_fma_f64 v[24:25], v[62:63], s[16:17], -v[86:87]
	v_add_f64 v[170:171], v[192:193], v[170:171]
	v_add_f64 v[174:175], v[194:195], v[174:175]
	;; [unrolled: 1-line block ×5, first 2 shown]
	v_fma_f64 v[26:27], v[64:65], s[16:17], v[90:91]
	v_mul_f64 v[30:31], v[48:49], s[14:15]
	v_fma_f64 v[192:193], v[138:139], s[34:35], v[166:167]
	v_add_f64 v[44:45], v[0:1], v[202:203]
	v_mul_f64 v[172:173], v[142:143], s[38:39]
	v_fma_f64 v[42:43], v[144:145], s[24:25], v[42:43]
	v_mul_f64 v[178:179], v[136:137], s[40:41]
	v_fma_f64 v[166:167], v[138:139], s[38:39], v[166:167]
	v_mul_f64 v[200:201], v[136:137], s[22:23]
	v_mul_f64 v[206:207], v[66:67], s[14:15]
	;; [unrolled: 1-line block ×3, first 2 shown]
	v_add_f64 v[84:85], v[40:41], -v[28:29]
	v_fma_f64 v[204:205], v[50:51], s[16:17], v[168:169]
	v_mul_f64 v[180:181], v[62:63], s[6:7]
	v_fma_f64 v[198:199], v[130:131], s[28:29], v[176:177]
	v_add_f64 v[16:17], v[16:17], v[20:21]
	v_fma_f64 v[20:21], v[58:59], s[14:15], -v[80:81]
	v_add_f64 v[170:171], v[184:185], v[170:171]
	v_fma_f64 v[184:185], v[64:65], s[4:5], v[150:151]
	v_add_f64 v[174:175], v[186:187], v[174:175]
	v_fma_f64 v[150:151], v[64:65], s[4:5], -v[150:151]
	v_add_f64 v[32:33], v[46:47], v[32:33]
	v_add_f64 v[34:35], v[146:147], v[34:35]
	;; [unrolled: 1-line block ×5, first 2 shown]
	v_fma_f64 v[22:23], v[60:61], s[14:15], v[82:83]
	v_fma_f64 v[186:187], v[60:61], s[6:7], v[98:99]
	v_add_f64 v[26:27], v[26:27], v[160:161]
	v_add_f64 v[158:159], v[188:189], v[164:165]
	v_fma_f64 v[162:163], v[94:95], s[42:43], v[152:153]
	v_fma_f64 v[152:153], v[94:95], s[22:23], v[152:153]
	v_add_f64 v[44:45], v[192:193], v[44:45]
	v_mul_f64 v[188:189], v[70:71], s[4:5]
	v_fma_f64 v[38:39], v[72:73], s[14:15], v[172:173]
	v_add_f64 v[194:195], v[2:3], v[204:205]
	v_add_f64 v[42:43], v[0:1], v[42:43]
	;; [unrolled: 1-line block ×3, first 2 shown]
	v_mul_f64 v[16:17], v[36:37], s[34:35]
	v_add_f64 v[164:165], v[196:197], v[170:171]
	v_fma_f64 v[170:171], v[60:61], s[18:19], v[154:155]
	v_add_f64 v[174:175], v[184:185], v[174:175]
	v_fma_f64 v[154:155], v[60:61], s[18:19], -v[154:155]
	v_add_f64 v[32:33], v[148:149], v[32:33]
	v_add_f64 v[34:35], v[150:151], v[34:35]
	;; [unrolled: 1-line block ×4, first 2 shown]
	v_mul_f64 v[146:147], v[48:49], s[10:11]
	v_mul_f64 v[36:37], v[36:37], s[36:37]
	v_fma_f64 v[172:173], v[72:73], s[14:15], -v[172:173]
	v_add_f64 v[22:23], v[22:23], v[26:27]
	v_add_f64 v[26:27], v[186:187], v[158:159]
	v_mul_f64 v[28:29], v[128:129], s[20:21]
	v_fma_f64 v[46:47], v[68:69], s[4:5], v[178:179]
	v_add_f64 v[44:45], v[198:199], v[44:45]
	v_mul_f64 v[198:199], v[66:67], s[18:19]
	v_fma_f64 v[202:203], v[138:139], s[28:29], v[188:189]
	v_add_f64 v[38:39], v[38:39], v[194:195]
	v_add_f64 v[42:43], v[166:167], v[42:43]
	v_fma_f64 v[166:167], v[130:131], s[40:41], v[176:177]
	v_fma_f64 v[176:177], v[68:69], s[18:19], v[200:201]
	v_add_f64 v[150:151], v[162:163], v[164:165]
	v_fma_f64 v[162:163], v[74:75], s[38:39], v[156:157]
	v_add_f64 v[158:159], v[170:171], v[174:175]
	v_fma_f64 v[164:165], v[50:51], s[16:17], -v[168:169]
	v_add_f64 v[32:33], v[152:153], v[32:33]
	v_add_f64 v[34:35], v[154:155], v[34:35]
	v_fma_f64 v[152:153], v[74:75], s[34:35], v[156:157]
	v_fma_f64 v[154:155], v[144:145], s[38:39], v[30:31]
	v_mul_f64 v[156:157], v[70:71], s[6:7]
	v_fma_f64 v[170:171], v[50:51], s[14:15], v[16:17]
	v_mul_f64 v[174:175], v[142:143], s[0:1]
	v_fma_f64 v[30:31], v[144:145], s[34:35], v[30:31]
	v_fma_f64 v[16:17], v[50:51], s[14:15], -v[16:17]
	v_fma_f64 v[186:187], v[144:145], s[30:31], v[146:147]
	v_fma_f64 v[190:191], v[50:51], s[10:11], v[36:37]
	v_mul_f64 v[142:143], v[142:143], s[40:41]
	v_fma_f64 v[144:145], v[144:145], s[36:37], v[146:147]
	v_fma_f64 v[36:37], v[50:51], s[10:11], -v[36:37]
	v_fma_f64 v[184:185], v[122:123], s[0:1], v[180:181]
	v_fma_f64 v[148:149], v[64:65], s[6:7], v[28:29]
	v_add_f64 v[38:39], v[46:47], v[38:39]
	v_add_f64 v[8:9], v[8:9], v[12:13]
	v_mul_f64 v[12:13], v[58:59], s[10:11]
	v_mul_f64 v[46:47], v[118:119], s[30:31]
	v_add_f64 v[42:43], v[166:167], v[42:43]
	v_add_f64 v[164:165], v[2:3], v[164:165]
	v_fma_f64 v[166:167], v[122:123], s[20:21], v[180:181]
	v_fma_f64 v[28:29], v[64:65], s[6:7], -v[28:29]
	v_mul_f64 v[76:77], v[74:75], s[36:37]
	v_add_f64 v[146:147], v[0:1], v[154:155]
	v_fma_f64 v[154:155], v[138:139], s[20:21], v[156:157]
	v_add_f64 v[170:171], v[2:3], v[170:171]
	v_fma_f64 v[196:197], v[72:73], s[6:7], v[174:175]
	;; [unrolled: 2-line block ×3, first 2 shown]
	v_add_f64 v[16:17], v[2:3], v[16:17]
	v_fma_f64 v[174:175], v[72:73], s[6:7], -v[174:175]
	v_add_f64 v[186:187], v[0:1], v[186:187]
	v_add_f64 v[190:191], v[2:3], v[190:191]
	v_fma_f64 v[204:205], v[72:73], s[4:5], v[142:143]
	v_fma_f64 v[138:139], v[138:139], s[40:41], v[188:189]
	v_add_f64 v[144:145], v[0:1], v[144:145]
	v_add_f64 v[36:37], v[2:3], v[36:37]
	v_fma_f64 v[142:143], v[72:73], s[4:5], -v[142:143]
	v_mul_f64 v[188:189], v[128:129], s[30:31]
	v_mul_f64 v[128:129], v[128:129], s[42:43]
	;; [unrolled: 1-line block ×3, first 2 shown]
	v_add_f64 v[164:165], v[172:173], v[164:165]
	v_fma_f64 v[172:173], v[68:69], s[4:5], -v[178:179]
	v_mul_f64 v[178:179], v[62:63], s[10:11]
	v_mul_f64 v[88:89], v[74:75], s[40:41]
	v_mul_f64 v[92:93], v[84:85], s[40:41]
	v_add_f64 v[146:147], v[154:155], v[146:147]
	v_mul_f64 v[40:41], v[84:85], s[34:35]
	v_add_f64 v[154:155], v[196:197], v[170:171]
	v_fma_f64 v[170:171], v[130:131], s[42:43], v[198:199]
	v_add_f64 v[30:31], v[156:157], v[30:31]
	v_fma_f64 v[156:157], v[130:131], s[22:23], v[198:199]
	v_add_f64 v[16:17], v[174:175], v[16:17]
	v_fma_f64 v[174:175], v[68:69], s[18:19], -v[200:201]
	v_add_f64 v[186:187], v[202:203], v[186:187]
	v_add_f64 v[190:191], v[204:205], v[190:191]
	v_fma_f64 v[196:197], v[130:131], s[38:39], v[206:207]
	v_fma_f64 v[198:199], v[68:69], s[14:15], v[136:137]
	v_mul_f64 v[200:201], v[62:63], s[18:19]
	v_add_f64 v[138:139], v[138:139], v[144:145]
	v_fma_f64 v[130:131], v[130:131], s[34:35], v[206:207]
	v_add_f64 v[36:37], v[142:143], v[36:37]
	v_fma_f64 v[136:137], v[68:69], s[14:15], -v[136:137]
	v_add_f64 v[14:15], v[14:15], v[18:19]
	v_add_f64 v[142:143], v[172:173], v[164:165]
	v_fma_f64 v[164:165], v[64:65], s[10:11], v[188:189]
	v_mul_f64 v[172:173], v[118:119], s[40:41]
	v_mul_f64 v[118:119], v[118:119], s[24:25]
	v_add_f64 v[44:45], v[184:185], v[44:45]
	v_add_f64 v[38:39], v[148:149], v[38:39]
	v_fma_f64 v[148:149], v[94:95], s[36:37], v[12:13]
	v_add_f64 v[144:145], v[170:171], v[146:147]
	v_add_f64 v[146:147], v[176:177], v[154:155]
	v_fma_f64 v[154:155], v[122:123], s[36:37], v[178:179]
	v_mul_f64 v[170:171], v[58:59], s[4:5]
	v_add_f64 v[30:31], v[156:157], v[30:31]
	v_add_f64 v[16:17], v[174:175], v[16:17]
	v_fma_f64 v[156:157], v[122:123], s[30:31], v[178:179]
	v_fma_f64 v[174:175], v[64:65], s[10:11], -v[188:189]
	v_add_f64 v[176:177], v[196:197], v[186:187]
	v_add_f64 v[178:179], v[198:199], v[190:191]
	v_fma_f64 v[180:181], v[122:123], s[22:23], v[200:201]
	v_fma_f64 v[186:187], v[64:65], s[18:19], v[128:129]
	v_mul_f64 v[188:189], v[58:59], s[16:17]
	v_add_f64 v[130:131], v[130:131], v[138:139]
	v_fma_f64 v[122:123], v[122:123], s[42:43], v[200:201]
	v_add_f64 v[36:37], v[136:137], v[36:37]
	v_fma_f64 v[128:129], v[64:65], s[18:19], -v[128:129]
	v_fma_f64 v[184:185], v[60:61], s[10:11], v[46:47]
	v_mul_f64 v[192:193], v[54:55], s[18:19]
	v_mul_f64 v[194:195], v[84:85], s[42:43]
	v_add_f64 v[42:43], v[166:167], v[42:43]
	v_add_f64 v[28:29], v[28:29], v[142:143]
	v_fma_f64 v[12:13], v[94:95], s[30:31], v[12:13]
	v_fma_f64 v[46:47], v[60:61], s[10:11], -v[46:47]
	v_add_f64 v[136:137], v[154:155], v[144:145]
	v_add_f64 v[138:139], v[164:165], v[146:147]
	v_fma_f64 v[142:143], v[94:95], s[28:29], v[170:171]
	v_fma_f64 v[144:145], v[60:61], s[4:5], v[172:173]
	v_mul_f64 v[146:147], v[54:55], s[16:17]
	v_mul_f64 v[154:155], v[84:85], s[24:25]
	v_add_f64 v[30:31], v[156:157], v[30:31]
	v_add_f64 v[16:17], v[174:175], v[16:17]
	v_fma_f64 v[156:157], v[94:95], s[40:41], v[170:171]
	v_fma_f64 v[164:165], v[60:61], s[4:5], -v[172:173]
	v_add_f64 v[166:167], v[180:181], v[176:177]
	v_add_f64 v[170:171], v[186:187], v[178:179]
	v_fma_f64 v[172:173], v[94:95], s[26:27], v[188:189]
	v_fma_f64 v[174:175], v[60:61], s[16:17], v[118:119]
	v_mul_f64 v[84:85], v[84:85], s[0:1]
	v_mul_f64 v[176:177], v[54:55], s[6:7]
	v_add_f64 v[122:123], v[122:123], v[130:131]
	v_fma_f64 v[94:95], v[94:95], s[24:25], v[188:189]
	v_add_f64 v[36:37], v[128:129], v[36:37]
	v_fma_f64 v[118:119], v[60:61], s[16:17], -v[118:119]
	v_fma_f64 v[18:19], v[54:55], s[10:11], -v[76:77]
	v_fma_f64 v[160:161], v[56:57], s[10:11], v[78:79]
	v_fma_f64 v[182:183], v[54:55], s[4:5], -v[88:89]
	v_add_f64 v[10:11], v[10:11], v[14:15]
	v_fma_f64 v[14:15], v[56:57], s[4:5], v[92:93]
	v_fma_f64 v[168:169], v[56:57], s[14:15], v[40:41]
	v_fma_f64 v[40:41], v[56:57], s[14:15], -v[40:41]
	v_add_f64 v[128:129], v[148:149], v[44:45]
	v_add_f64 v[38:39], v[184:185], v[38:39]
	v_fma_f64 v[130:131], v[74:75], s[22:23], v[192:193]
	v_fma_f64 v[148:149], v[56:57], s[18:19], v[194:195]
	v_add_f64 v[42:43], v[12:13], v[42:43]
	v_add_f64 v[28:29], v[46:47], v[28:29]
	v_fma_f64 v[178:179], v[74:75], s[42:43], v[192:193]
	v_fma_f64 v[180:181], v[56:57], s[18:19], -v[194:195]
	v_add_f64 v[136:137], v[142:143], v[136:137]
	v_add_f64 v[138:139], v[144:145], v[138:139]
	v_fma_f64 v[142:143], v[74:75], s[26:27], v[146:147]
	v_fma_f64 v[144:145], v[56:57], s[16:17], v[154:155]
	v_add_f64 v[30:31], v[156:157], v[30:31]
	v_add_f64 v[156:157], v[164:165], v[16:17]
	;; [unrolled: 8-line block ×3, first 2 shown]
	v_fma_f64 v[74:75], v[74:75], s[0:1], v[176:177]
	v_fma_f64 v[84:85], v[56:57], s[6:7], -v[84:85]
	v_add_f64 v[4:5], v[4:5], v[8:9]
	v_add_f64 v[6:7], v[6:7], v[10:11]
	;; [unrolled: 1-line block ×22, first 2 shown]
	s_mov_b32 s1, exec_lo
	v_cmpx_gt_u32_e32 0x6e, v141
	s_cbranch_execz .LBB0_15
; %bb.14:
	v_mul_f64 v[74:75], v[50:51], s[18:19]
	v_mul_f64 v[84:85], v[48:49], s[18:19]
	v_mul_f64 v[50:51], v[50:51], s[4:5]
	v_mul_f64 v[48:49], v[48:49], s[4:5]
	v_mul_f64 v[94:95], v[72:73], s[16:17]
	v_mul_f64 v[118:119], v[70:71], s[16:17]
	v_mul_f64 v[72:73], v[72:73], s[18:19]
	v_mul_f64 v[70:71], v[70:71], s[18:19]
	v_mul_f64 v[122:123], v[68:69], s[6:7]
	v_mul_f64 v[68:69], v[68:69], s[10:11]
	v_add_f64 v[74:75], v[74:75], -v[134:135]
	v_add_f64 v[84:85], v[132:133], v[84:85]
	v_add_f64 v[50:51], v[50:51], -v[126:127]
	v_add_f64 v[48:49], v[114:115], v[48:49]
	v_mul_f64 v[114:115], v[66:67], s[6:7]
	v_mul_f64 v[66:67], v[66:67], s[10:11]
	v_add_f64 v[94:95], v[94:95], -v[124:125]
	v_add_f64 v[118:119], v[120:121], v[118:119]
	v_add_f64 v[72:73], v[72:73], -v[110:111]
	v_add_f64 v[70:71], v[108:109], v[70:71]
	v_add_f64 v[68:69], v[68:69], -v[116:117]
	v_add_f64 v[102:103], v[122:123], -v[102:103]
	v_add_f64 v[74:75], v[2:3], v[74:75]
	v_add_f64 v[84:85], v[0:1], v[84:85]
	;; [unrolled: 1-line block ×4, first 2 shown]
	v_mul_f64 v[48:49], v[62:63], s[16:17]
	v_mul_f64 v[50:51], v[64:65], s[16:17]
	;; [unrolled: 1-line block ×4, first 2 shown]
	v_add_f64 v[66:67], v[112:113], v[66:67]
	v_add_f64 v[100:101], v[100:101], v[114:115]
	;; [unrolled: 1-line block ×6, first 2 shown]
	v_mul_f64 v[70:71], v[58:59], s[14:15]
	v_mul_f64 v[72:73], v[60:61], s[14:15]
	v_mul_f64 v[58:59], v[58:59], s[6:7]
	v_mul_f64 v[60:61], v[60:61], s[6:7]
	v_add_f64 v[64:65], v[64:65], -v[106:107]
	v_add_f64 v[62:63], v[104:105], v[62:63]
	v_add_f64 v[50:51], v[50:51], -v[90:91]
	v_add_f64 v[48:49], v[86:87], v[48:49]
	v_add_f64 v[68:69], v[68:69], v[74:75]
	;; [unrolled: 1-line block ×5, first 2 shown]
	v_mul_f64 v[74:75], v[54:55], s[10:11]
	v_mul_f64 v[84:85], v[56:57], s[10:11]
	v_mul_f64 v[54:55], v[54:55], s[4:5]
	v_mul_f64 v[56:57], v[56:57], s[4:5]
	v_add_f64 v[60:61], v[60:61], -v[98:99]
	v_add_f64 v[58:59], v[96:97], v[58:59]
	v_add_f64 v[72:73], v[72:73], -v[82:83]
	v_add_f64 v[70:71], v[80:81], v[70:71]
	v_add_f64 v[64:65], v[64:65], v[68:69]
	;; [unrolled: 1-line block ×6, first 2 shown]
	v_add_f64 v[48:49], v[56:57], -v[92:93]
	v_add_f64 v[54:55], v[84:85], -v[78:79]
	v_add_f64 v[56:57], v[76:77], v[74:75]
	v_add_f64 v[60:61], v[60:61], v[64:65]
	;; [unrolled: 1-line block ×9, first 2 shown]
	v_mad_u32_u24 v54, 0xd0, v141, 0
	ds_write_b128 v54, v[4:7]
	ds_write_b128 v54, v[8:11] offset:16
	ds_write_b128 v54, v[12:15] offset:32
	;; [unrolled: 1-line block ×12, first 2 shown]
.LBB0_15:
	s_or_b32 exec_lo, exec_lo, s1
	v_cmp_gt_u32_e64 s0, 0x82, v141
	v_lshl_add_u32 v54, v141, 4, 0
	s_waitcnt lgkmcnt(0)
	s_barrier
	buffer_gl0_inv
	s_and_saveexec_b32 s1, s0
	s_cbranch_execz .LBB0_17
; %bb.16:
	ds_read_b128 v[4:7], v54
	ds_read_b128 v[8:11], v54 offset:2080
	ds_read_b128 v[12:15], v54 offset:4160
	;; [unrolled: 1-line block ×10, first 2 shown]
.LBB0_17:
	s_or_b32 exec_lo, exec_lo, s1
	s_waitcnt lgkmcnt(0)
	s_barrier
	buffer_gl0_inv
	s_and_saveexec_b32 s33, s0
	s_cbranch_execz .LBB0_19
; %bb.18:
	v_and_b32_e32 v0, 0xff, v141
	v_mov_b32_e32 v1, 10
	s_mov_b32 s0, 0x640f44db
	s_mov_b32 s6, 0x43842ef
	;; [unrolled: 1-line block ×3, first 2 shown]
	v_mul_lo_u16 v0, 0x4f, v0
	s_mov_b32 s14, 0x8eee2c13
	s_mov_b32 s10, 0x7f775887
	;; [unrolled: 1-line block ×4, first 2 shown]
	v_lshrrev_b16 v55, 10, v0
	s_mov_b32 s22, 0xf8bb580b
	s_mov_b32 s20, 0x9bcd5057
	;; [unrolled: 1-line block ×4, first 2 shown]
	v_mul_lo_u16 v0, v55, 13
	s_mov_b32 s7, 0x3fefac9e
	s_mov_b32 s5, 0x3fda9628
	;; [unrolled: 1-line block ×4, first 2 shown]
	v_sub_nc_u16 v56, v141, v0
	s_mov_b32 s19, 0x3fe82f19
	s_mov_b32 s17, 0x3feaeb8c
	;; [unrolled: 1-line block ×4, first 2 shown]
	v_mul_u32_u24_sdwa v0, v56, v1 dst_sel:DWORD dst_unused:UNUSED_PAD src0_sel:BYTE_0 src1_sel:DWORD
	s_mov_b32 s25, 0x3fd207e7
	s_mov_b32 s27, 0xbfefac9e
	;; [unrolled: 1-line block ×4, first 2 shown]
	v_lshlrev_b32_e32 v0, 4, v0
	s_mov_b32 s26, s6
	s_mov_b32 s30, s18
	;; [unrolled: 1-line block ×4, first 2 shown]
	s_clause 0x9
	global_load_dwordx4 v[57:60], v0, s[8:9] offset:64
	global_load_dwordx4 v[61:64], v0, s[8:9] offset:80
	;; [unrolled: 1-line block ×8, first 2 shown]
	global_load_dwordx4 v[89:92], v0, s[8:9]
	global_load_dwordx4 v[93:96], v0, s[8:9] offset:144
	s_mov_b32 s34, s22
	s_mov_b32 s29, 0x3fed1bb4
	;; [unrolled: 1-line block ×3, first 2 shown]
	v_mov_b32_e32 v139, 0x8f0
	v_mov_b32_e32 v242, 4
	s_waitcnt vmcnt(9)
	v_mul_f64 v[0:1], v[24:25], v[59:60]
	s_waitcnt vmcnt(8)
	v_mul_f64 v[2:3], v[28:29], v[63:64]
	;; [unrolled: 2-line block ×10, first 2 shown]
	v_mul_f64 v[91:92], v[10:11], v[91:92]
	v_mul_f64 v[95:96], v[46:47], v[95:96]
	;; [unrolled: 1-line block ×10, first 2 shown]
	v_fma_f64 v[48:49], v[26:27], v[57:58], v[0:1]
	v_fma_f64 v[26:27], v[30:31], v[61:62], v[2:3]
	;; [unrolled: 1-line block ×10, first 2 shown]
	v_fma_f64 v[8:9], v[8:9], v[89:90], -v[91:92]
	v_fma_f64 v[2:3], v[44:45], v[93:94], -v[95:96]
	;; [unrolled: 1-line block ×10, first 2 shown]
	v_add_f64 v[36:37], v[48:49], v[26:27]
	v_add_f64 v[59:60], v[48:49], -v[26:27]
	v_add_f64 v[40:41], v[50:51], v[22:23]
	v_add_f64 v[77:78], v[50:51], -v[22:23]
	;; [unrolled: 2-line block ×5, first 2 shown]
	v_add_f64 v[71:72], v[8:9], -v[2:3]
	v_add_f64 v[75:76], v[8:9], v[2:3]
	v_add_f64 v[42:43], v[6:7], v[42:43]
	;; [unrolled: 1-line block ×3, first 2 shown]
	v_add_f64 v[63:64], v[30:31], -v[24:25]
	v_add_f64 v[65:66], v[28:29], -v[20:21]
	;; [unrolled: 1-line block ×3, first 2 shown]
	v_add_f64 v[73:74], v[30:31], v[24:25]
	v_add_f64 v[69:70], v[12:13], -v[10:11]
	v_add_f64 v[83:84], v[12:13], v[10:11]
	v_add_f64 v[79:80], v[28:29], v[20:21]
	;; [unrolled: 1-line block ×3, first 2 shown]
	v_mul_f64 v[89:90], v[36:37], s[0:1]
	v_mul_f64 v[103:104], v[36:37], s[4:5]
	;; [unrolled: 1-line block ×12, first 2 shown]
	v_add_f64 v[38:39], v[42:43], v[38:39]
	v_add_f64 v[8:9], v[8:9], v[12:13]
	v_mul_f64 v[125:126], v[57:58], s[0:1]
	v_mul_f64 v[129:130], v[61:62], s[26:27]
	;; [unrolled: 1-line block ×20, first 2 shown]
	v_add_f64 v[34:35], v[38:39], v[34:35]
	v_add_f64 v[8:9], v[8:9], v[32:33]
	v_mul_f64 v[156:157], v[81:82], s[24:25]
	v_mul_f64 v[158:159], v[81:82], s[30:31]
	;; [unrolled: 1-line block ×4, first 2 shown]
	v_fma_f64 v[214:215], v[71:72], s[34:35], v[57:58]
	v_fma_f64 v[216:217], v[75:76], s[16:17], v[61:62]
	v_fma_f64 v[57:58], v[71:72], s[22:23], v[57:58]
	v_fma_f64 v[61:62], v[75:76], s[16:17], -v[61:62]
	v_mul_f64 v[113:114], v[59:60], s[28:29]
	v_mul_f64 v[127:128], v[59:60], s[30:31]
	;; [unrolled: 1-line block ×12, first 2 shown]
	v_add_f64 v[34:35], v[34:35], v[50:51]
	v_add_f64 v[8:9], v[8:9], v[28:29]
	v_mul_f64 v[166:167], v[85:86], s[24:25]
	v_mul_f64 v[85:86], v[85:86], s[26:27]
	v_fma_f64 v[176:177], v[71:72], s[24:25], v[97:98]
	v_fma_f64 v[180:181], v[75:76], s[20:21], v[101:102]
	;; [unrolled: 1-line block ×3, first 2 shown]
	v_fma_f64 v[101:102], v[75:76], s[20:21], -v[101:102]
	v_fma_f64 v[190:191], v[71:72], s[18:19], v[111:112]
	v_fma_f64 v[194:195], v[75:76], s[10:11], v[115:116]
	;; [unrolled: 1-line block ×5, first 2 shown]
	v_fma_f64 v[146:147], v[75:76], s[4:5], -v[146:147]
	v_fma_f64 v[115:116], v[75:76], s[10:11], -v[115:116]
	v_fma_f64 v[204:205], v[71:72], s[6:7], v[125:126]
	v_fma_f64 v[206:207], v[75:76], s[0:1], v[129:130]
	;; [unrolled: 1-line block ×3, first 2 shown]
	v_fma_f64 v[129:130], v[75:76], s[0:1], -v[129:130]
	v_fma_f64 v[111:112], v[71:72], s[30:31], v[111:112]
	v_fma_f64 v[168:169], v[63:64], s[6:7], v[89:90]
	;; [unrolled: 1-line block ×3, first 2 shown]
	v_add_f64 v[34:35], v[34:35], v[48:49]
	v_add_f64 v[8:9], v[8:9], v[30:31]
	v_fma_f64 v[182:183], v[63:64], s[14:15], v[103:104]
	v_fma_f64 v[103:104], v[63:64], s[28:29], v[103:104]
	;; [unrolled: 1-line block ×15, first 2 shown]
	v_fma_f64 v[81:82], v[83:84], s[4:5], -v[81:82]
	v_add_f64 v[57:58], v[6:7], v[57:58]
	v_add_f64 v[61:62], v[4:5], v[61:62]
	v_fma_f64 v[170:171], v[65:66], s[14:15], v[91:92]
	v_fma_f64 v[172:173], v[67:68], s[18:19], v[93:94]
	;; [unrolled: 1-line block ×7, first 2 shown]
	v_fma_f64 v[99:100], v[73:74], s[0:1], -v[99:100]
	v_fma_f64 v[184:185], v[65:66], s[24:25], v[105:106]
	v_fma_f64 v[186:187], v[67:68], s[34:35], v[107:108]
	v_fma_f64 v[188:189], v[69:70], s[26:27], v[109:110]
	v_fma_f64 v[192:193], v[73:74], s[4:5], v[113:114]
	v_fma_f64 v[105:106], v[65:66], s[36:37], v[105:106]
	v_fma_f64 v[107:108], v[67:68], s[22:23], v[107:108]
	v_fma_f64 v[109:110], v[69:70], s[6:7], v[109:110]
	v_fma_f64 v[113:114], v[73:74], s[4:5], -v[113:114]
	v_fma_f64 v[198:199], v[65:66], s[34:35], v[119:120]
	v_fma_f64 v[200:201], v[67:68], s[14:15], v[121:122]
	v_fma_f64 v[202:203], v[69:70], s[36:37], v[123:124]
	v_fma_f64 v[119:120], v[65:66], s[22:23], v[119:120]
	v_fma_f64 v[121:122], v[67:68], s[28:29], v[121:122]
	v_fma_f64 v[123:124], v[69:70], s[24:25], v[123:124]
	v_fma_f64 v[71:72], v[65:66], s[26:27], v[133:134]
	v_fma_f64 v[75:76], v[67:68], s[36:37], v[135:136]
	v_fma_f64 v[218:219], v[69:70], s[18:19], v[137:138]
	v_fma_f64 v[133:134], v[65:66], s[6:7], v[133:134]
	v_fma_f64 v[135:136], v[67:68], s[24:25], v[135:136]
	v_fma_f64 v[137:138], v[69:70], s[30:31], v[137:138]
	v_fma_f64 v[65:66], v[73:74], s[10:11], v[127:128]
	v_fma_f64 v[67:68], v[73:74], s[10:11], -v[127:128]
	v_fma_f64 v[69:70], v[73:74], s[16:17], v[144:145]
	v_fma_f64 v[127:128], v[73:74], s[16:17], -v[144:145]
	v_fma_f64 v[144:145], v[73:74], s[20:21], v[59:60]
	;; [unrolled: 2-line block ×16, first 2 shown]
	v_fma_f64 v[30:31], v[87:88], s[0:1], -v[85:86]
	v_add_f64 v[48:49], v[6:7], v[176:177]
	v_add_f64 v[85:86], v[4:5], v[180:181]
	;; [unrolled: 1-line block ×108, first 2 shown]
	v_mul_u32_u24_sdwa v0, v55, v139 dst_sel:DWORD dst_unused:UNUSED_PAD src0_sel:WORD_0 src1_sel:DWORD
	v_lshlrev_b32_sdwa v1, v242, v56 dst_sel:DWORD dst_unused:UNUSED_PAD src0_sel:DWORD src1_sel:BYTE_0
	v_add3_u32 v0, 0, v0, v1
	ds_write_b128 v0, v[28:31] offset:208
	ds_write_b128 v0, v[24:27] offset:416
	;; [unrolled: 1-line block ×9, first 2 shown]
	ds_write_b128 v0, v[44:47]
	ds_write_b128 v0, v[40:43] offset:2080
.LBB0_19:
	s_or_b32 exec_lo, exec_lo, s33
	s_waitcnt lgkmcnt(0)
	s_barrier
	buffer_gl0_inv
	s_and_saveexec_b32 s0, vcc_lo
	s_cbranch_execz .LBB0_21
; %bb.20:
	v_mul_u32_u24_e32 v0, 9, v141
	v_mad_u64_u32 v[79:80], null, s2, v140, 0
	v_add_nc_u32_e32 v99, 0x8f, v140
	v_add_nc_u32_e32 v100, 0x11e, v140
	v_lshlrev_b32_e32 v0, 4, v0
	v_add_nc_u32_e32 v101, 0x1ad, v140
	v_add_nc_u32_e32 v102, 0x23c, v140
	;; [unrolled: 1-line block ×3, first 2 shown]
	v_lshlrev_b64 v[52:53], 4, v[52:53]
	v_add_co_u32 v0, s0, s8, v0
	v_add_co_ci_u32_e64 v1, null, s9, 0, s0
	v_add_nc_u32_e32 v104, 0x35a, v140
	v_add_co_u32 v8, vcc_lo, 0x820, v0
	v_add_co_ci_u32_e32 v9, vcc_lo, 0, v1, vcc_lo
	v_add_co_u32 v10, vcc_lo, 0x800, v0
	v_add_co_ci_u32_e32 v11, vcc_lo, 0, v1, vcc_lo
	;; [unrolled: 2-line block ×3, first 2 shown]
	s_clause 0x8
	global_load_dwordx4 v[0:3], v[8:9], off offset:32
	global_load_dwordx4 v[4:7], v[10:11], off offset:96
	;; [unrolled: 1-line block ×9, first 2 shown]
	ds_read_b128 v[40:43], v54 offset:4576
	ds_read_b128 v[44:47], v54 offset:6864
	;; [unrolled: 1-line block ×8, first 2 shown]
	ds_read_b128 v[8:11], v54
	ds_read_b128 v[75:78], v54 offset:2288
	v_add_nc_u32_e32 v105, 0x3e9, v140
	v_add_nc_u32_e32 v107, 0x507, v140
	v_mad_u64_u32 v[81:82], null, s2, v99, 0
	v_mad_u64_u32 v[83:84], null, s2, v100, 0
	v_add_nc_u32_e32 v106, 0x478, v140
	v_mad_u64_u32 v[85:86], null, s2, v101, 0
	v_mad_u64_u32 v[87:88], null, s2, v102, 0
	v_mov_b32_e32 v54, v80
	v_mad_u64_u32 v[89:90], null, s2, v103, 0
	v_mad_u64_u32 v[91:92], null, s2, v104, 0
	;; [unrolled: 1-line block ×4, first 2 shown]
	v_add_co_u32 v131, vcc_lo, s12, v52
	v_mad_u64_u32 v[95:96], null, s2, v106, 0
	v_add_co_ci_u32_e32 v132, vcc_lo, s13, v53, vcc_lo
	s_waitcnt lgkmcnt(6)
	v_mad_u64_u32 v[52:53], null, s3, v140, v[54:55]
	v_mov_b32_e32 v53, v82
	v_mov_b32_e32 v54, v84
	;; [unrolled: 1-line block ×8, first 2 shown]
	v_mad_u64_u32 v[98:99], null, s3, v99, v[53:54]
	v_mov_b32_e32 v90, v96
	v_mad_u64_u32 v[53:54], null, s3, v100, v[54:55]
	v_mad_u64_u32 v[99:100], null, s3, v101, v[80:81]
	;; [unrolled: 1-line block ×7, first 2 shown]
	v_mov_b32_e32 v82, v98
	v_mov_b32_e32 v80, v52
	v_mad_u64_u32 v[105:106], null, s3, v107, v[92:93]
	v_mov_b32_e32 v84, v53
	v_mov_b32_e32 v86, v99
	;; [unrolled: 1-line block ×7, first 2 shown]
	v_lshlrev_b64 v[52:53], 4, v[81:82]
	v_mov_b32_e32 v98, v105
	v_lshlrev_b64 v[79:80], 4, v[79:80]
	v_lshlrev_b64 v[83:84], 4, v[83:84]
	;; [unrolled: 1-line block ×3, first 2 shown]
	s_mov_b32 s0, 0x134454ff
	s_mov_b32 s1, 0x3fee6f0e
	;; [unrolled: 1-line block ×12, first 2 shown]
	v_lshlrev_b64 v[87:88], 4, v[87:88]
	v_lshlrev_b64 v[89:90], 4, v[89:90]
	s_waitcnt vmcnt(8)
	v_mul_f64 v[81:82], v[2:3], v[46:47]
	s_waitcnt vmcnt(7)
	v_mul_f64 v[99:100], v[6:7], v[57:58]
	s_waitcnt vmcnt(6) lgkmcnt(4)
	v_mul_f64 v[101:102], v[14:15], v[65:66]
	s_waitcnt vmcnt(5) lgkmcnt(2)
	v_mul_f64 v[103:104], v[18:19], v[73:74]
	v_mul_f64 v[57:58], v[4:5], v[57:58]
	;; [unrolled: 1-line block ×5, first 2 shown]
	s_waitcnt vmcnt(4)
	v_mul_f64 v[105:106], v[20:21], v[42:43]
	s_waitcnt vmcnt(3)
	v_mul_f64 v[107:108], v[24:25], v[50:51]
	v_mul_f64 v[50:51], v[26:27], v[50:51]
	;; [unrolled: 1-line block ×3, first 2 shown]
	s_waitcnt vmcnt(0) lgkmcnt(0)
	v_mul_f64 v[113:114], v[38:39], v[77:78]
	v_mul_f64 v[77:78], v[36:37], v[77:78]
	;; [unrolled: 1-line block ×6, first 2 shown]
	v_fma_f64 v[0:1], v[0:1], v[44:45], -v[81:82]
	v_fma_f64 v[4:5], v[4:5], v[55:56], -v[99:100]
	;; [unrolled: 1-line block ×4, first 2 shown]
	v_fma_f64 v[6:7], v[55:56], v[6:7], v[57:58]
	v_fma_f64 v[18:19], v[71:72], v[18:19], v[73:74]
	;; [unrolled: 1-line block ×6, first 2 shown]
	v_fma_f64 v[24:25], v[48:49], v[24:25], -v[50:51]
	v_fma_f64 v[20:21], v[40:41], v[20:21], -v[42:43]
	;; [unrolled: 1-line block ×3, first 2 shown]
	v_fma_f64 v[38:39], v[75:76], v[38:39], v[77:78]
	v_add_co_u32 v63, vcc_lo, v131, v79
	v_add_co_ci_u32_e32 v64, vcc_lo, v132, v80, vcc_lo
	v_fma_f64 v[30:31], v[30:31], v[59:60], v[109:110]
	v_fma_f64 v[34:35], v[34:35], v[67:68], v[111:112]
	v_fma_f64 v[32:33], v[67:68], v[32:33], -v[69:70]
	v_fma_f64 v[28:29], v[59:60], v[28:29], -v[61:62]
	v_add_co_u32 v52, vcc_lo, v131, v52
	v_add_f64 v[48:49], v[0:1], v[12:13]
	v_add_f64 v[40:41], v[4:5], v[16:17]
	v_add_f64 v[79:80], v[0:1], -v[12:13]
	v_add_f64 v[42:43], v[6:7], v[18:19]
	v_add_f64 v[75:76], v[6:7], -v[18:19]
	v_add_f64 v[50:51], v[2:3], v[14:15]
	v_add_f64 v[73:74], v[2:3], -v[14:15]
	v_add_f64 v[77:78], v[4:5], -v[16:17]
	v_add_co_ci_u32_e32 v53, vcc_lo, v132, v53, vcc_lo
	v_add_co_u32 v58, vcc_lo, v131, v83
	v_add_co_ci_u32_e32 v59, vcc_lo, v132, v84, vcc_lo
	v_add_co_u32 v60, vcc_lo, v131, v85
	v_lshlrev_b64 v[44:45], 4, v[91:92]
	v_lshlrev_b64 v[46:47], 4, v[93:94]
	v_add_co_ci_u32_e32 v61, vcc_lo, v132, v86, vcc_lo
	v_add_f64 v[81:82], v[26:27], v[34:35]
	v_add_f64 v[83:84], v[0:1], -v[4:5]
	v_fma_f64 v[48:49], v[48:49], -0.5, v[36:37]
	v_fma_f64 v[40:41], v[40:41], -0.5, v[36:37]
	v_add_f64 v[85:86], v[12:13], -v[16:17]
	v_fma_f64 v[42:43], v[42:43], -0.5, v[38:39]
	v_add_f64 v[91:92], v[2:3], -v[6:7]
	v_fma_f64 v[50:51], v[50:51], -0.5, v[38:39]
	v_add_f64 v[93:94], v[14:15], -v[18:19]
	v_add_f64 v[99:100], v[22:23], v[30:31]
	v_add_f64 v[101:102], v[4:5], -v[0:1]
	v_add_f64 v[103:104], v[16:17], -v[12:13]
	;; [unrolled: 1-line block ×3, first 2 shown]
	v_add_f64 v[2:3], v[2:3], v[38:39]
	v_add_f64 v[38:39], v[24:25], v[32:33]
	;; [unrolled: 1-line block ×3, first 2 shown]
	v_add_f64 v[107:108], v[18:19], -v[14:15]
	v_add_f64 v[71:72], v[20:21], -v[28:29]
	v_add_f64 v[109:110], v[22:23], v[10:11]
	v_add_f64 v[113:114], v[20:21], -v[24:25]
	v_add_f64 v[127:128], v[24:25], -v[20:21]
	v_add_f64 v[20:21], v[20:21], v[8:9]
	v_add_f64 v[0:1], v[0:1], v[36:37]
	v_lshlrev_b64 v[54:55], 4, v[95:96]
	v_fma_f64 v[121:122], v[75:76], s[8:9], v[48:49]
	v_fma_f64 v[123:124], v[73:74], s[0:1], v[40:41]
	;; [unrolled: 1-line block ×8, first 2 shown]
	v_add_f64 v[65:66], v[22:23], -v[26:27]
	v_add_f64 v[69:70], v[24:25], -v[32:33]
	;; [unrolled: 1-line block ×5, first 2 shown]
	v_fma_f64 v[36:37], v[81:82], -0.5, v[10:11]
	v_fma_f64 v[10:11], v[99:100], -0.5, v[10:11]
	v_add_f64 v[81:82], v[83:84], v[85:86]
	v_add_f64 v[83:84], v[91:92], v[93:94]
	v_fma_f64 v[38:39], v[38:39], -0.5, v[8:9]
	v_fma_f64 v[8:9], v[111:112], -0.5, v[8:9]
	v_add_f64 v[85:86], v[101:102], v[103:104]
	v_add_f64 v[91:92], v[105:106], v[107:108]
	;; [unrolled: 1-line block ×3, first 2 shown]
	v_fma_f64 v[101:102], v[73:74], s[6:7], v[121:122]
	v_fma_f64 v[103:104], v[75:76], s[6:7], v[123:124]
	;; [unrolled: 1-line block ×8, first 2 shown]
	v_add_f64 v[2:3], v[6:7], v[2:3]
	v_add_f64 v[6:7], v[24:25], v[20:21]
	;; [unrolled: 1-line block ×3, first 2 shown]
	v_lshlrev_b64 v[56:57], 4, v[97:98]
	v_add_f64 v[67:68], v[30:31], -v[34:35]
	v_add_f64 v[97:98], v[34:35], -v[30:31]
	;; [unrolled: 1-line block ×3, first 2 shown]
	v_fma_f64 v[4:5], v[71:72], s[0:1], v[36:37]
	v_fma_f64 v[20:21], v[69:70], s[8:9], v[10:11]
	;; [unrolled: 1-line block ×9, first 2 shown]
	v_add_f64 v[129:130], v[32:33], -v[28:29]
	v_fma_f64 v[75:76], v[83:84], s[4:5], v[93:94]
	v_fma_f64 v[93:94], v[81:82], s[4:5], v[103:104]
	;; [unrolled: 1-line block ×7, first 2 shown]
	v_add_f64 v[26:27], v[34:35], v[26:27]
	v_add_f64 v[2:3], v[18:19], v[2:3]
	;; [unrolled: 1-line block ×7, first 2 shown]
	v_fma_f64 v[4:5], v[69:70], s[6:7], v[4:5]
	v_fma_f64 v[16:17], v[71:72], s[6:7], v[20:21]
	;; [unrolled: 1-line block ×8, first 2 shown]
	v_mul_f64 v[32:33], v[75:76], s[14:15]
	v_mul_f64 v[36:37], v[79:80], s[8:9]
	;; [unrolled: 1-line block ×4, first 2 shown]
	v_add_f64 v[83:84], v[127:128], v[129:130]
	v_mul_f64 v[34:35], v[77:78], s[4:5]
	v_mul_f64 v[73:74], v[50:51], s[0:1]
	;; [unrolled: 1-line block ×4, first 2 shown]
	v_add_f64 v[26:27], v[30:31], v[26:27]
	v_add_f64 v[14:15], v[14:15], v[2:3]
	;; [unrolled: 1-line block ×4, first 2 shown]
	v_add_co_u32 v87, vcc_lo, v131, v87
	v_fma_f64 v[30:31], v[65:66], s[4:5], v[4:5]
	v_fma_f64 v[16:17], v[67:68], s[4:5], v[16:17]
	;; [unrolled: 1-line block ×5, first 2 shown]
	v_add_co_ci_u32_e32 v88, vcc_lo, v132, v88, vcc_lo
	v_fma_f64 v[20:21], v[40:41], s[10:11], -v[32:33]
	v_fma_f64 v[32:33], v[50:51], s[4:5], v[36:37]
	v_fma_f64 v[36:37], v[81:82], s[4:5], v[22:23]
	;; [unrolled: 1-line block ×5, first 2 shown]
	v_fma_f64 v[24:25], v[48:49], s[8:9], -v[34:35]
	v_fma_f64 v[8:9], v[83:84], s[4:5], v[8:9]
	v_fma_f64 v[48:49], v[79:80], s[4:5], v[73:74]
	v_fma_f64 v[50:51], v[77:78], s[0:1], -v[71:72]
	v_fma_f64 v[40:41], v[75:76], s[6:7], -v[69:70]
	v_add_f64 v[6:7], v[26:27], v[14:15]
	v_add_f64 v[4:5], v[28:29], v[12:13]
	v_add_f64 v[0:1], v[28:29], -v[12:13]
	v_add_f64 v[2:3], v[26:27], -v[14:15]
	v_add_co_u32 v69, vcc_lo, v131, v89
	v_add_co_ci_u32_e32 v70, vcc_lo, v132, v90, vcc_lo
	v_add_co_u32 v44, vcc_lo, v131, v44
	v_add_co_ci_u32_e32 v45, vcc_lo, v132, v45, vcc_lo
	v_add_f64 v[10:11], v[30:31], -v[20:21]
	v_add_f64 v[18:19], v[67:68], -v[32:33]
	v_add_f64 v[22:23], v[30:31], v[20:21]
	v_add_f64 v[30:31], v[67:68], v[32:33]
	;; [unrolled: 1-line block ×4, first 2 shown]
	v_add_f64 v[14:15], v[16:17], -v[24:25]
	v_add_f64 v[28:29], v[8:9], v[48:49]
	v_add_f64 v[26:27], v[16:17], v[24:25]
	;; [unrolled: 1-line block ×4, first 2 shown]
	v_add_f64 v[38:39], v[65:66], -v[38:39]
	v_add_f64 v[36:37], v[36:37], -v[42:43]
	;; [unrolled: 1-line block ×5, first 2 shown]
	v_add_co_u32 v40, vcc_lo, v131, v46
	v_add_co_ci_u32_e32 v41, vcc_lo, v132, v47, vcc_lo
	v_add_co_u32 v42, vcc_lo, v131, v54
	v_add_co_ci_u32_e32 v43, vcc_lo, v132, v55, vcc_lo
	;; [unrolled: 2-line block ×3, first 2 shown]
	global_store_dwordx4 v[63:64], v[4:7], off
	global_store_dwordx4 v[52:53], v[32:35], off
	;; [unrolled: 1-line block ×10, first 2 shown]
.LBB0_21:
	s_endpgm
	.section	.rodata,"a",@progbits
	.p2align	6, 0x0
	.amdhsa_kernel fft_rtc_fwd_len1430_factors_13_11_10_wgs_143_tpt_143_dp_ip_CI_sbrr_dirReg
		.amdhsa_group_segment_fixed_size 0
		.amdhsa_private_segment_fixed_size 0
		.amdhsa_kernarg_size 88
		.amdhsa_user_sgpr_count 6
		.amdhsa_user_sgpr_private_segment_buffer 1
		.amdhsa_user_sgpr_dispatch_ptr 0
		.amdhsa_user_sgpr_queue_ptr 0
		.amdhsa_user_sgpr_kernarg_segment_ptr 1
		.amdhsa_user_sgpr_dispatch_id 0
		.amdhsa_user_sgpr_flat_scratch_init 0
		.amdhsa_user_sgpr_private_segment_size 0
		.amdhsa_wavefront_size32 1
		.amdhsa_uses_dynamic_stack 0
		.amdhsa_system_sgpr_private_segment_wavefront_offset 0
		.amdhsa_system_sgpr_workgroup_id_x 1
		.amdhsa_system_sgpr_workgroup_id_y 0
		.amdhsa_system_sgpr_workgroup_id_z 0
		.amdhsa_system_sgpr_workgroup_info 0
		.amdhsa_system_vgpr_workitem_id 0
		.amdhsa_next_free_vgpr 243
		.amdhsa_next_free_sgpr 44
		.amdhsa_reserve_vcc 1
		.amdhsa_reserve_flat_scratch 0
		.amdhsa_float_round_mode_32 0
		.amdhsa_float_round_mode_16_64 0
		.amdhsa_float_denorm_mode_32 3
		.amdhsa_float_denorm_mode_16_64 3
		.amdhsa_dx10_clamp 1
		.amdhsa_ieee_mode 1
		.amdhsa_fp16_overflow 0
		.amdhsa_workgroup_processor_mode 1
		.amdhsa_memory_ordered 1
		.amdhsa_forward_progress 0
		.amdhsa_shared_vgpr_count 0
		.amdhsa_exception_fp_ieee_invalid_op 0
		.amdhsa_exception_fp_denorm_src 0
		.amdhsa_exception_fp_ieee_div_zero 0
		.amdhsa_exception_fp_ieee_overflow 0
		.amdhsa_exception_fp_ieee_underflow 0
		.amdhsa_exception_fp_ieee_inexact 0
		.amdhsa_exception_int_div_zero 0
	.end_amdhsa_kernel
	.text
.Lfunc_end0:
	.size	fft_rtc_fwd_len1430_factors_13_11_10_wgs_143_tpt_143_dp_ip_CI_sbrr_dirReg, .Lfunc_end0-fft_rtc_fwd_len1430_factors_13_11_10_wgs_143_tpt_143_dp_ip_CI_sbrr_dirReg
                                        ; -- End function
	.section	.AMDGPU.csdata,"",@progbits
; Kernel info:
; codeLenInByte = 11696
; NumSgprs: 46
; NumVgprs: 243
; ScratchSize: 0
; MemoryBound: 1
; FloatMode: 240
; IeeeMode: 1
; LDSByteSize: 0 bytes/workgroup (compile time only)
; SGPRBlocks: 5
; VGPRBlocks: 30
; NumSGPRsForWavesPerEU: 46
; NumVGPRsForWavesPerEU: 243
; Occupancy: 4
; WaveLimiterHint : 1
; COMPUTE_PGM_RSRC2:SCRATCH_EN: 0
; COMPUTE_PGM_RSRC2:USER_SGPR: 6
; COMPUTE_PGM_RSRC2:TRAP_HANDLER: 0
; COMPUTE_PGM_RSRC2:TGID_X_EN: 1
; COMPUTE_PGM_RSRC2:TGID_Y_EN: 0
; COMPUTE_PGM_RSRC2:TGID_Z_EN: 0
; COMPUTE_PGM_RSRC2:TIDIG_COMP_CNT: 0
	.text
	.p2alignl 6, 3214868480
	.fill 48, 4, 3214868480
	.type	__hip_cuid_4e51f0d126f515fd,@object ; @__hip_cuid_4e51f0d126f515fd
	.section	.bss,"aw",@nobits
	.globl	__hip_cuid_4e51f0d126f515fd
__hip_cuid_4e51f0d126f515fd:
	.byte	0                               ; 0x0
	.size	__hip_cuid_4e51f0d126f515fd, 1

	.ident	"AMD clang version 19.0.0git (https://github.com/RadeonOpenCompute/llvm-project roc-6.4.0 25133 c7fe45cf4b819c5991fe208aaa96edf142730f1d)"
	.section	".note.GNU-stack","",@progbits
	.addrsig
	.addrsig_sym __hip_cuid_4e51f0d126f515fd
	.amdgpu_metadata
---
amdhsa.kernels:
  - .args:
      - .actual_access:  read_only
        .address_space:  global
        .offset:         0
        .size:           8
        .value_kind:     global_buffer
      - .offset:         8
        .size:           8
        .value_kind:     by_value
      - .actual_access:  read_only
        .address_space:  global
        .offset:         16
        .size:           8
        .value_kind:     global_buffer
      - .actual_access:  read_only
        .address_space:  global
        .offset:         24
        .size:           8
        .value_kind:     global_buffer
      - .offset:         32
        .size:           8
        .value_kind:     by_value
      - .actual_access:  read_only
        .address_space:  global
        .offset:         40
        .size:           8
        .value_kind:     global_buffer
      - .actual_access:  read_only
        .address_space:  global
        .offset:         48
        .size:           8
        .value_kind:     global_buffer
      - .offset:         56
        .size:           4
        .value_kind:     by_value
      - .actual_access:  read_only
        .address_space:  global
        .offset:         64
        .size:           8
        .value_kind:     global_buffer
      - .actual_access:  read_only
        .address_space:  global
        .offset:         72
        .size:           8
        .value_kind:     global_buffer
      - .address_space:  global
        .offset:         80
        .size:           8
        .value_kind:     global_buffer
    .group_segment_fixed_size: 0
    .kernarg_segment_align: 8
    .kernarg_segment_size: 88
    .language:       OpenCL C
    .language_version:
      - 2
      - 0
    .max_flat_workgroup_size: 143
    .name:           fft_rtc_fwd_len1430_factors_13_11_10_wgs_143_tpt_143_dp_ip_CI_sbrr_dirReg
    .private_segment_fixed_size: 0
    .sgpr_count:     46
    .sgpr_spill_count: 0
    .symbol:         fft_rtc_fwd_len1430_factors_13_11_10_wgs_143_tpt_143_dp_ip_CI_sbrr_dirReg.kd
    .uniform_work_group_size: 1
    .uses_dynamic_stack: false
    .vgpr_count:     243
    .vgpr_spill_count: 0
    .wavefront_size: 32
    .workgroup_processor_mode: 1
amdhsa.target:   amdgcn-amd-amdhsa--gfx1030
amdhsa.version:
  - 1
  - 2
...

	.end_amdgpu_metadata
